;; amdgpu-corpus repo=ROCm/rocFFT kind=compiled arch=gfx1201 opt=O3
	.text
	.amdgcn_target "amdgcn-amd-amdhsa--gfx1201"
	.amdhsa_code_object_version 6
	.protected	fft_rtc_back_len300_factors_10_10_3_wgs_60_tpt_30_halfLds_sp_ip_CI_sbrr_dirReg ; -- Begin function fft_rtc_back_len300_factors_10_10_3_wgs_60_tpt_30_halfLds_sp_ip_CI_sbrr_dirReg
	.globl	fft_rtc_back_len300_factors_10_10_3_wgs_60_tpt_30_halfLds_sp_ip_CI_sbrr_dirReg
	.p2align	8
	.type	fft_rtc_back_len300_factors_10_10_3_wgs_60_tpt_30_halfLds_sp_ip_CI_sbrr_dirReg,@function
fft_rtc_back_len300_factors_10_10_3_wgs_60_tpt_30_halfLds_sp_ip_CI_sbrr_dirReg: ; @fft_rtc_back_len300_factors_10_10_3_wgs_60_tpt_30_halfLds_sp_ip_CI_sbrr_dirReg
; %bb.0:
	s_clause 0x2
	s_load_b64 s[12:13], s[0:1], 0x18
	s_load_b128 s[4:7], s[0:1], 0x0
	s_load_b64 s[10:11], s[0:1], 0x50
	v_mul_u32_u24_e32 v1, 0x889, v0
	v_mov_b32_e32 v3, 0
	s_delay_alu instid0(VALU_DEP_2) | instskip(SKIP_2) | instid1(VALU_DEP_4)
	v_lshrrev_b32_e32 v28, 16, v1
	v_mov_b32_e32 v1, 0
	v_mov_b32_e32 v2, 0
	;; [unrolled: 1-line block ×3, first 2 shown]
	s_delay_alu instid0(VALU_DEP_4) | instskip(SKIP_3) | instid1(VALU_DEP_1)
	v_lshl_add_u32 v5, ttmp9, 1, v28
	s_wait_kmcnt 0x0
	s_load_b64 s[8:9], s[12:13], 0x0
	v_cmp_lt_u64_e64 s2, s[6:7], 2
	s_and_b32 vcc_lo, exec_lo, s2
	s_cbranch_vccnz .LBB0_8
; %bb.1:
	s_load_b64 s[2:3], s[0:1], 0x10
	v_mov_b32_e32 v1, 0
	v_mov_b32_e32 v2, 0
	s_add_nc_u64 s[14:15], s[12:13], 8
	s_mov_b64 s[16:17], 1
	s_wait_kmcnt 0x0
	s_add_nc_u64 s[18:19], s[2:3], 8
	s_mov_b32 s3, 0
.LBB0_2:                                ; =>This Inner Loop Header: Depth=1
	s_load_b64 s[20:21], s[18:19], 0x0
                                        ; implicit-def: $vgpr7_vgpr8
	s_mov_b32 s2, exec_lo
	s_wait_kmcnt 0x0
	v_or_b32_e32 v4, s21, v6
	s_delay_alu instid0(VALU_DEP_1)
	v_cmpx_ne_u64_e32 0, v[3:4]
	s_wait_alu 0xfffe
	s_xor_b32 s22, exec_lo, s2
	s_cbranch_execz .LBB0_4
; %bb.3:                                ;   in Loop: Header=BB0_2 Depth=1
	s_cvt_f32_u32 s2, s20
	s_cvt_f32_u32 s23, s21
	s_sub_nc_u64 s[26:27], 0, s[20:21]
	s_wait_alu 0xfffe
	s_delay_alu instid0(SALU_CYCLE_1) | instskip(SKIP_1) | instid1(SALU_CYCLE_2)
	s_fmamk_f32 s2, s23, 0x4f800000, s2
	s_wait_alu 0xfffe
	v_s_rcp_f32 s2, s2
	s_delay_alu instid0(TRANS32_DEP_1) | instskip(SKIP_1) | instid1(SALU_CYCLE_2)
	s_mul_f32 s2, s2, 0x5f7ffffc
	s_wait_alu 0xfffe
	s_mul_f32 s23, s2, 0x2f800000
	s_wait_alu 0xfffe
	s_delay_alu instid0(SALU_CYCLE_2) | instskip(SKIP_1) | instid1(SALU_CYCLE_2)
	s_trunc_f32 s23, s23
	s_wait_alu 0xfffe
	s_fmamk_f32 s2, s23, 0xcf800000, s2
	s_cvt_u32_f32 s25, s23
	s_wait_alu 0xfffe
	s_delay_alu instid0(SALU_CYCLE_1) | instskip(SKIP_1) | instid1(SALU_CYCLE_2)
	s_cvt_u32_f32 s24, s2
	s_wait_alu 0xfffe
	s_mul_u64 s[28:29], s[26:27], s[24:25]
	s_wait_alu 0xfffe
	s_mul_hi_u32 s31, s24, s29
	s_mul_i32 s30, s24, s29
	s_mul_hi_u32 s2, s24, s28
	s_mul_i32 s33, s25, s28
	s_wait_alu 0xfffe
	s_add_nc_u64 s[30:31], s[2:3], s[30:31]
	s_mul_hi_u32 s23, s25, s28
	s_mul_hi_u32 s34, s25, s29
	s_add_co_u32 s2, s30, s33
	s_wait_alu 0xfffe
	s_add_co_ci_u32 s2, s31, s23
	s_mul_i32 s28, s25, s29
	s_add_co_ci_u32 s29, s34, 0
	s_wait_alu 0xfffe
	s_add_nc_u64 s[28:29], s[2:3], s[28:29]
	s_wait_alu 0xfffe
	v_add_co_u32 v4, s2, s24, s28
	s_delay_alu instid0(VALU_DEP_1) | instskip(SKIP_1) | instid1(VALU_DEP_1)
	s_cmp_lg_u32 s2, 0
	s_add_co_ci_u32 s25, s25, s29
	v_readfirstlane_b32 s24, v4
	s_wait_alu 0xfffe
	s_delay_alu instid0(VALU_DEP_1)
	s_mul_u64 s[26:27], s[26:27], s[24:25]
	s_wait_alu 0xfffe
	s_mul_hi_u32 s29, s24, s27
	s_mul_i32 s28, s24, s27
	s_mul_hi_u32 s2, s24, s26
	s_mul_i32 s30, s25, s26
	s_wait_alu 0xfffe
	s_add_nc_u64 s[28:29], s[2:3], s[28:29]
	s_mul_hi_u32 s23, s25, s26
	s_mul_hi_u32 s24, s25, s27
	s_wait_alu 0xfffe
	s_add_co_u32 s2, s28, s30
	s_add_co_ci_u32 s2, s29, s23
	s_mul_i32 s26, s25, s27
	s_add_co_ci_u32 s27, s24, 0
	s_wait_alu 0xfffe
	s_add_nc_u64 s[26:27], s[2:3], s[26:27]
	s_wait_alu 0xfffe
	v_add_co_u32 v4, s2, v4, s26
	s_delay_alu instid0(VALU_DEP_1) | instskip(SKIP_1) | instid1(VALU_DEP_1)
	s_cmp_lg_u32 s2, 0
	s_add_co_ci_u32 s2, s25, s27
	v_mul_hi_u32 v13, v5, v4
	s_wait_alu 0xfffe
	v_mad_co_u64_u32 v[7:8], null, v5, s2, 0
	v_mad_co_u64_u32 v[9:10], null, v6, v4, 0
	;; [unrolled: 1-line block ×3, first 2 shown]
	s_delay_alu instid0(VALU_DEP_3) | instskip(SKIP_1) | instid1(VALU_DEP_4)
	v_add_co_u32 v4, vcc_lo, v13, v7
	s_wait_alu 0xfffd
	v_add_co_ci_u32_e32 v7, vcc_lo, 0, v8, vcc_lo
	s_delay_alu instid0(VALU_DEP_2) | instskip(SKIP_1) | instid1(VALU_DEP_2)
	v_add_co_u32 v4, vcc_lo, v4, v9
	s_wait_alu 0xfffd
	v_add_co_ci_u32_e32 v4, vcc_lo, v7, v10, vcc_lo
	s_wait_alu 0xfffd
	v_add_co_ci_u32_e32 v7, vcc_lo, 0, v12, vcc_lo
	s_delay_alu instid0(VALU_DEP_2) | instskip(SKIP_1) | instid1(VALU_DEP_2)
	v_add_co_u32 v4, vcc_lo, v4, v11
	s_wait_alu 0xfffd
	v_add_co_ci_u32_e32 v9, vcc_lo, 0, v7, vcc_lo
	s_delay_alu instid0(VALU_DEP_2) | instskip(SKIP_1) | instid1(VALU_DEP_3)
	v_mul_lo_u32 v10, s21, v4
	v_mad_co_u64_u32 v[7:8], null, s20, v4, 0
	v_mul_lo_u32 v11, s20, v9
	s_delay_alu instid0(VALU_DEP_2) | instskip(NEXT) | instid1(VALU_DEP_2)
	v_sub_co_u32 v7, vcc_lo, v5, v7
	v_add3_u32 v8, v8, v11, v10
	s_delay_alu instid0(VALU_DEP_1) | instskip(SKIP_1) | instid1(VALU_DEP_1)
	v_sub_nc_u32_e32 v10, v6, v8
	s_wait_alu 0xfffd
	v_subrev_co_ci_u32_e64 v10, s2, s21, v10, vcc_lo
	v_add_co_u32 v11, s2, v4, 2
	s_wait_alu 0xf1ff
	v_add_co_ci_u32_e64 v12, s2, 0, v9, s2
	v_sub_co_u32 v13, s2, v7, s20
	v_sub_co_ci_u32_e32 v8, vcc_lo, v6, v8, vcc_lo
	s_wait_alu 0xf1ff
	v_subrev_co_ci_u32_e64 v10, s2, 0, v10, s2
	s_delay_alu instid0(VALU_DEP_3) | instskip(NEXT) | instid1(VALU_DEP_3)
	v_cmp_le_u32_e32 vcc_lo, s20, v13
	v_cmp_eq_u32_e64 s2, s21, v8
	s_wait_alu 0xfffd
	v_cndmask_b32_e64 v13, 0, -1, vcc_lo
	v_cmp_le_u32_e32 vcc_lo, s21, v10
	s_wait_alu 0xfffd
	v_cndmask_b32_e64 v14, 0, -1, vcc_lo
	v_cmp_le_u32_e32 vcc_lo, s20, v7
	;; [unrolled: 3-line block ×3, first 2 shown]
	s_wait_alu 0xfffd
	v_cndmask_b32_e64 v15, 0, -1, vcc_lo
	v_cmp_eq_u32_e32 vcc_lo, s21, v10
	s_wait_alu 0xf1ff
	s_delay_alu instid0(VALU_DEP_2)
	v_cndmask_b32_e64 v7, v15, v7, s2
	s_wait_alu 0xfffd
	v_cndmask_b32_e32 v10, v14, v13, vcc_lo
	v_add_co_u32 v13, vcc_lo, v4, 1
	s_wait_alu 0xfffd
	v_add_co_ci_u32_e32 v14, vcc_lo, 0, v9, vcc_lo
	s_delay_alu instid0(VALU_DEP_3) | instskip(SKIP_2) | instid1(VALU_DEP_3)
	v_cmp_ne_u32_e32 vcc_lo, 0, v10
	s_wait_alu 0xfffd
	v_cndmask_b32_e32 v10, v13, v11, vcc_lo
	v_cndmask_b32_e32 v8, v14, v12, vcc_lo
	v_cmp_ne_u32_e32 vcc_lo, 0, v7
	s_wait_alu 0xfffd
	s_delay_alu instid0(VALU_DEP_2)
	v_dual_cndmask_b32 v7, v4, v10 :: v_dual_cndmask_b32 v8, v9, v8
.LBB0_4:                                ;   in Loop: Header=BB0_2 Depth=1
	s_wait_alu 0xfffe
	s_and_not1_saveexec_b32 s2, s22
	s_cbranch_execz .LBB0_6
; %bb.5:                                ;   in Loop: Header=BB0_2 Depth=1
	v_cvt_f32_u32_e32 v4, s20
	s_sub_co_i32 s22, 0, s20
	s_delay_alu instid0(VALU_DEP_1) | instskip(NEXT) | instid1(TRANS32_DEP_1)
	v_rcp_iflag_f32_e32 v4, v4
	v_mul_f32_e32 v4, 0x4f7ffffe, v4
	s_delay_alu instid0(VALU_DEP_1) | instskip(SKIP_1) | instid1(VALU_DEP_1)
	v_cvt_u32_f32_e32 v4, v4
	s_wait_alu 0xfffe
	v_mul_lo_u32 v7, s22, v4
	s_delay_alu instid0(VALU_DEP_1) | instskip(NEXT) | instid1(VALU_DEP_1)
	v_mul_hi_u32 v7, v4, v7
	v_add_nc_u32_e32 v4, v4, v7
	s_delay_alu instid0(VALU_DEP_1) | instskip(NEXT) | instid1(VALU_DEP_1)
	v_mul_hi_u32 v4, v5, v4
	v_mul_lo_u32 v7, v4, s20
	v_add_nc_u32_e32 v8, 1, v4
	s_delay_alu instid0(VALU_DEP_2) | instskip(NEXT) | instid1(VALU_DEP_1)
	v_sub_nc_u32_e32 v7, v5, v7
	v_subrev_nc_u32_e32 v9, s20, v7
	v_cmp_le_u32_e32 vcc_lo, s20, v7
	s_wait_alu 0xfffd
	s_delay_alu instid0(VALU_DEP_2) | instskip(NEXT) | instid1(VALU_DEP_1)
	v_dual_cndmask_b32 v7, v7, v9 :: v_dual_cndmask_b32 v4, v4, v8
	v_cmp_le_u32_e32 vcc_lo, s20, v7
	s_delay_alu instid0(VALU_DEP_2) | instskip(SKIP_1) | instid1(VALU_DEP_1)
	v_add_nc_u32_e32 v8, 1, v4
	s_wait_alu 0xfffd
	v_dual_cndmask_b32 v7, v4, v8 :: v_dual_mov_b32 v8, v3
.LBB0_6:                                ;   in Loop: Header=BB0_2 Depth=1
	s_wait_alu 0xfffe
	s_or_b32 exec_lo, exec_lo, s2
	s_load_b64 s[22:23], s[14:15], 0x0
	s_delay_alu instid0(VALU_DEP_1)
	v_mul_lo_u32 v4, v8, s20
	v_mul_lo_u32 v11, v7, s21
	v_mad_co_u64_u32 v[9:10], null, v7, s20, 0
	s_add_nc_u64 s[16:17], s[16:17], 1
	s_add_nc_u64 s[14:15], s[14:15], 8
	s_wait_alu 0xfffe
	v_cmp_ge_u64_e64 s2, s[16:17], s[6:7]
	s_add_nc_u64 s[18:19], s[18:19], 8
	s_delay_alu instid0(VALU_DEP_2) | instskip(NEXT) | instid1(VALU_DEP_3)
	v_add3_u32 v4, v10, v11, v4
	v_sub_co_u32 v5, vcc_lo, v5, v9
	s_wait_alu 0xfffd
	s_delay_alu instid0(VALU_DEP_2) | instskip(SKIP_3) | instid1(VALU_DEP_2)
	v_sub_co_ci_u32_e32 v4, vcc_lo, v6, v4, vcc_lo
	s_and_b32 vcc_lo, exec_lo, s2
	s_wait_kmcnt 0x0
	v_mul_lo_u32 v6, s23, v5
	v_mul_lo_u32 v4, s22, v4
	v_mad_co_u64_u32 v[1:2], null, s22, v5, v[1:2]
	s_delay_alu instid0(VALU_DEP_1)
	v_add3_u32 v2, v6, v2, v4
	s_wait_alu 0xfffe
	s_cbranch_vccnz .LBB0_9
; %bb.7:                                ;   in Loop: Header=BB0_2 Depth=1
	v_dual_mov_b32 v5, v7 :: v_dual_mov_b32 v6, v8
	s_branch .LBB0_2
.LBB0_8:
	v_dual_mov_b32 v8, v6 :: v_dual_mov_b32 v7, v5
.LBB0_9:
	s_lshl_b64 s[2:3], s[6:7], 3
	v_mul_hi_u32 v3, 0x8888889, v0
	s_wait_alu 0xfffe
	s_add_nc_u64 s[2:3], s[12:13], s[2:3]
                                        ; implicit-def: $vgpr26
                                        ; implicit-def: $vgpr27
                                        ; implicit-def: $vgpr23
	s_load_b64 s[2:3], s[2:3], 0x0
	s_load_b64 s[0:1], s[0:1], 0x20
	s_delay_alu instid0(VALU_DEP_1) | instskip(NEXT) | instid1(VALU_DEP_1)
	v_mul_u32_u24_e32 v3, 30, v3
	v_sub_nc_u32_e32 v22, v0, v3
	s_delay_alu instid0(VALU_DEP_1)
	v_add_nc_u32_e32 v24, 30, v22
	v_add_nc_u32_e32 v25, 60, v22
	s_wait_kmcnt 0x0
	v_mul_lo_u32 v4, s2, v8
	v_mul_lo_u32 v5, s3, v7
	v_mad_co_u64_u32 v[1:2], null, s2, v7, v[1:2]
	v_cmp_gt_u64_e32 vcc_lo, s[0:1], v[7:8]
	v_cmp_le_u64_e64 s0, s[0:1], v[7:8]
	s_delay_alu instid0(VALU_DEP_3) | instskip(NEXT) | instid1(VALU_DEP_2)
	v_add3_u32 v2, v5, v2, v4
	s_and_saveexec_b32 s1, s0
	s_wait_alu 0xfffe
	s_xor_b32 s0, exec_lo, s1
; %bb.10:
	v_add_nc_u32_e32 v26, 30, v22
	v_add_nc_u32_e32 v27, 60, v22
	;; [unrolled: 1-line block ×3, first 2 shown]
; %bb.11:
	s_wait_alu 0xfffe
	s_or_saveexec_b32 s1, s0
	v_lshlrev_b64_e32 v[0:1], 3, v[1:2]
                                        ; implicit-def: $vgpr9
                                        ; implicit-def: $vgpr19
                                        ; implicit-def: $vgpr11
                                        ; implicit-def: $vgpr17
                                        ; implicit-def: $vgpr13
                                        ; implicit-def: $vgpr21
                                        ; implicit-def: $vgpr7
                                        ; implicit-def: $vgpr15
                                        ; implicit-def: $vgpr5
                                        ; implicit-def: $vgpr3
	s_wait_alu 0xfffe
	s_xor_b32 exec_lo, exec_lo, s1
	s_cbranch_execz .LBB0_13
; %bb.12:
	v_mad_co_u64_u32 v[2:3], null, s8, v22, 0
	v_mad_co_u64_u32 v[4:5], null, s8, v24, 0
	;; [unrolled: 1-line block ×3, first 2 shown]
	v_add_nc_u32_e32 v23, 0x5a, v22
	v_add_co_u32 v31, s0, s10, v0
	s_wait_alu 0xf1ff
	v_add_co_ci_u32_e64 v32, s0, s11, v1, s0
	v_mad_co_u64_u32 v[8:9], null, s9, v22, v[3:4]
	v_mad_co_u64_u32 v[9:10], null, s9, v24, v[5:6]
	;; [unrolled: 1-line block ×3, first 2 shown]
	v_add_nc_u32_e32 v14, 0x78, v22
	v_add_nc_u32_e32 v33, 0x10e, v22
	v_dual_mov_b32 v3, v8 :: v_dual_add_nc_u32 v26, 0xb4, v22
	s_delay_alu instid0(VALU_DEP_4) | instskip(NEXT) | instid1(VALU_DEP_2)
	v_mov_b32_e32 v8, v11
	v_lshlrev_b64_e32 v[2:3], 3, v[2:3]
	s_delay_alu instid0(VALU_DEP_3) | instskip(SKIP_1) | instid1(VALU_DEP_4)
	v_mad_co_u64_u32 v[18:19], null, s8, v26, 0
	v_add_nc_u32_e32 v15, 0x96, v22
	v_mad_co_u64_u32 v[11:12], null, s9, v25, v[7:8]
	v_mad_co_u64_u32 v[12:13], null, s8, v14, 0
	v_mov_b32_e32 v5, v9
	v_mad_co_u64_u32 v[8:9], null, s9, v23, v[8:9]
	v_add_co_u32 v2, s0, v31, v2
	v_mov_b32_e32 v7, v11
	s_wait_alu 0xf1ff
	v_add_co_ci_u32_e64 v3, s0, v32, v3, s0
	v_mad_co_u64_u32 v[16:17], null, s8, v15, 0
	v_dual_mov_b32 v11, v8 :: v_dual_mov_b32 v8, v13
	v_lshlrev_b64_e32 v[4:5], 3, v[4:5]
	v_lshlrev_b64_e32 v[6:7], 3, v[6:7]
	s_delay_alu instid0(VALU_DEP_3) | instskip(NEXT) | instid1(VALU_DEP_3)
	v_lshlrev_b64_e32 v[9:10], 3, v[10:11]
	v_add_co_u32 v4, s0, v31, v4
	s_wait_alu 0xf1ff
	s_delay_alu instid0(VALU_DEP_4) | instskip(NEXT) | instid1(VALU_DEP_4)
	v_add_co_ci_u32_e64 v5, s0, v32, v5, s0
	v_add_co_u32 v6, s0, v31, v6
	s_wait_alu 0xf1ff
	v_add_co_ci_u32_e64 v7, s0, v32, v7, s0
	v_mad_co_u64_u32 v[13:14], null, s9, v14, v[8:9]
	v_add_co_u32 v8, s0, v31, v9
	s_wait_alu 0xf1ff
	v_add_co_ci_u32_e64 v9, s0, v32, v10, s0
	v_mov_b32_e32 v10, v17
	s_delay_alu instid0(VALU_DEP_1)
	v_mad_co_u64_u32 v[10:11], null, s9, v15, v[10:11]
	s_clause 0x3
	global_load_b64 v[2:3], v[2:3], off
	global_load_b64 v[4:5], v[4:5], off
	;; [unrolled: 1-line block ×4, first 2 shown]
	v_mov_b32_e32 v8, v19
	v_lshlrev_b64_e32 v[11:12], 3, v[12:13]
	v_add_nc_u32_e32 v13, 0xf0, v22
	s_delay_alu instid0(VALU_DEP_3) | instskip(NEXT) | instid1(VALU_DEP_2)
	v_mad_co_u64_u32 v[8:9], null, s9, v26, v[8:9]
	v_mad_co_u64_u32 v[26:27], null, s8, v13, 0
	v_add_nc_u32_e32 v29, 0xd2, v22
	v_mov_b32_e32 v17, v10
	s_delay_alu instid0(VALU_DEP_4) | instskip(NEXT) | instid1(VALU_DEP_3)
	v_mov_b32_e32 v19, v8
	v_mad_co_u64_u32 v[20:21], null, s8, v29, 0
	s_delay_alu instid0(VALU_DEP_3) | instskip(NEXT) | instid1(VALU_DEP_2)
	v_lshlrev_b64_e32 v[16:17], 3, v[16:17]
	v_mov_b32_e32 v9, v21
	s_delay_alu instid0(VALU_DEP_1) | instskip(SKIP_4) | instid1(VALU_DEP_4)
	v_mad_co_u64_u32 v[9:10], null, s9, v29, v[9:10]
	v_mad_co_u64_u32 v[29:30], null, s8, v33, 0
	v_add_co_u32 v10, s0, v31, v11
	s_wait_alu 0xf1ff
	v_add_co_ci_u32_e64 v11, s0, v32, v12, s0
	v_dual_mov_b32 v12, v27 :: v_dual_mov_b32 v21, v9
	s_delay_alu instid0(VALU_DEP_1)
	v_mad_co_u64_u32 v[8:9], null, s9, v13, v[12:13]
	v_mov_b32_e32 v9, v30
	v_add_co_u32 v12, s0, v31, v16
	s_wait_alu 0xf1ff
	v_add_co_ci_u32_e64 v13, s0, v32, v17, s0
	v_lshlrev_b64_e32 v[16:17], 3, v[18:19]
	v_mad_co_u64_u32 v[18:19], null, s9, v33, v[9:10]
	v_lshlrev_b64_e32 v[19:20], 3, v[20:21]
	v_mov_b32_e32 v27, v8
	s_delay_alu instid0(VALU_DEP_4)
	v_add_co_u32 v8, s0, v31, v16
	s_wait_alu 0xf1ff
	v_add_co_ci_u32_e64 v9, s0, v32, v17, s0
	v_mov_b32_e32 v30, v18
	v_lshlrev_b64_e32 v[16:17], 3, v[26:27]
	v_add_co_u32 v18, s0, v31, v19
	s_wait_alu 0xf1ff
	v_add_co_ci_u32_e64 v19, s0, v32, v20, s0
	v_lshlrev_b64_e32 v[20:21], 3, v[29:30]
	s_delay_alu instid0(VALU_DEP_4) | instskip(SKIP_2) | instid1(VALU_DEP_3)
	v_add_co_u32 v26, s0, v31, v16
	s_wait_alu 0xf1ff
	v_add_co_ci_u32_e64 v27, s0, v32, v17, s0
	v_add_co_u32 v29, s0, v31, v20
	s_wait_alu 0xf1ff
	v_add_co_ci_u32_e64 v30, s0, v32, v21, s0
	s_clause 0x5
	global_load_b64 v[20:21], v[10:11], off
	global_load_b64 v[12:13], v[12:13], off
	;; [unrolled: 1-line block ×6, first 2 shown]
	v_dual_mov_b32 v27, v25 :: v_dual_mov_b32 v26, v24
.LBB0_13:
	s_or_b32 exec_lo, exec_lo, s1
	s_wait_loadcnt 0x3
	v_dual_add_f32 v29, v16, v20 :: v_dual_add_f32 v30, v14, v2
	s_wait_loadcnt 0x1
	v_dual_sub_f32 v31, v15, v19 :: v_dual_sub_f32 v32, v21, v17
	v_sub_f32_e32 v33, v14, v20
	s_delay_alu instid0(VALU_DEP_3) | instskip(SKIP_3) | instid1(VALU_DEP_4)
	v_fma_f32 v29, -0.5, v29, v2
	v_add_f32_e32 v30, v20, v30
	v_add_f32_e32 v35, v18, v14
	v_dual_sub_f32 v34, v18, v16 :: v_dual_sub_f32 v37, v16, v18
	v_fmamk_f32 v36, v31, 0xbf737871, v29
	v_fmac_f32_e32 v29, 0x3f737871, v31
	s_delay_alu instid0(VALU_DEP_4) | instskip(NEXT) | instid1(VALU_DEP_4)
	v_dual_fmac_f32 v2, -0.5, v35 :: v_dual_sub_f32 v35, v20, v14
	v_dual_add_f32 v33, v34, v33 :: v_dual_and_b32 v28, 1, v28
	s_delay_alu instid0(VALU_DEP_3) | instskip(SKIP_1) | instid1(VALU_DEP_4)
	v_dual_add_f32 v30, v16, v30 :: v_dual_fmac_f32 v29, 0x3f167918, v32
	v_fmac_f32_e32 v36, 0xbf167918, v32
	v_dual_fmamk_f32 v34, v32, 0x3f737871, v2 :: v_dual_add_f32 v39, v17, v21
	s_delay_alu instid0(VALU_DEP_3) | instskip(NEXT) | instid1(VALU_DEP_4)
	v_dual_add_f32 v30, v18, v30 :: v_dual_add_f32 v35, v37, v35
	v_dual_add_f32 v38, v15, v3 :: v_dual_fmac_f32 v29, 0x3e9e377a, v33
	s_delay_alu instid0(VALU_DEP_3)
	v_fma_f32 v37, -0.5, v39, v3
	v_sub_f32_e32 v16, v20, v16
	v_sub_f32_e32 v14, v14, v18
	v_fmac_f32_e32 v2, 0xbf737871, v32
	v_fmac_f32_e32 v34, 0xbf167918, v31
	v_add_f32_e32 v32, v21, v38
	v_sub_f32_e32 v20, v15, v21
	v_cmp_eq_u32_e64 s0, 1, v28
	v_fmac_f32_e32 v2, 0x3f167918, v31
	v_fmamk_f32 v31, v14, 0x3f737871, v37
	s_wait_loadcnt 0x0
	v_sub_f32_e32 v38, v10, v8
	s_wait_alu 0xf1ff
	v_cndmask_b32_e64 v28, 0, 0x4b0, s0
	v_cmp_gt_u32_e64 s0, 10, v22
	v_fmac_f32_e32 v31, 0x3f167918, v16
	v_dual_add_f32 v18, v17, v32 :: v_dual_fmac_f32 v37, 0xbf737871, v14
	v_add_f32_e32 v32, v19, v15
	v_sub_f32_e32 v15, v21, v15
	v_sub_f32_e32 v21, v8, v10
	s_delay_alu instid0(VALU_DEP_4) | instskip(NEXT) | instid1(VALU_DEP_4)
	v_fmac_f32_e32 v37, 0xbf167918, v16
	v_dual_fmac_f32 v36, 0x3e9e377a, v33 :: v_dual_fmac_f32 v3, -0.5, v32
	v_sub_f32_e32 v33, v19, v17
	v_dual_sub_f32 v17, v17, v19 :: v_dual_add_f32 v32, v19, v18
	v_dual_add_f32 v19, v6, v4 :: v_dual_fmac_f32 v2, 0x3e9e377a, v35
	s_delay_alu instid0(VALU_DEP_3) | instskip(NEXT) | instid1(VALU_DEP_3)
	v_add_f32_e32 v18, v33, v20
	v_dual_fmamk_f32 v20, v16, 0xbf737871, v3 :: v_dual_add_f32 v15, v17, v15
	s_delay_alu instid0(VALU_DEP_3) | instskip(NEXT) | instid1(VALU_DEP_2)
	v_dual_fmac_f32 v3, 0x3f737871, v16 :: v_dual_add_f32 v16, v12, v19
	v_dual_add_f32 v17, v10, v12 :: v_dual_fmac_f32 v20, 0x3f167918, v14
	v_sub_f32_e32 v19, v6, v12
	s_delay_alu instid0(VALU_DEP_3) | instskip(NEXT) | instid1(VALU_DEP_3)
	v_dual_fmac_f32 v3, 0xbf167918, v14 :: v_dual_add_f32 v14, v10, v16
	v_fma_f32 v16, -0.5, v17, v4
	v_dual_add_f32 v17, v8, v6 :: v_dual_fmac_f32 v34, 0x3e9e377a, v35
	v_fmac_f32_e32 v31, 0x3e9e377a, v18
	v_dual_fmac_f32 v37, 0x3e9e377a, v18 :: v_dual_fmac_f32 v20, 0x3e9e377a, v15
	v_dual_sub_f32 v18, v7, v9 :: v_dual_fmac_f32 v3, 0x3e9e377a, v15
	s_delay_alu instid0(VALU_DEP_4) | instskip(SKIP_1) | instid1(VALU_DEP_3)
	v_dual_sub_f32 v15, v13, v11 :: v_dual_fmac_f32 v4, -0.5, v17
	v_sub_f32_e32 v35, v12, v6
	v_dual_add_f32 v14, v8, v14 :: v_dual_fmamk_f32 v17, v18, 0xbf737871, v16
	v_dual_fmac_f32 v16, 0x3f737871, v18 :: v_dual_add_f32 v19, v21, v19
	s_delay_alu instid0(VALU_DEP_4) | instskip(SKIP_1) | instid1(VALU_DEP_4)
	v_fmamk_f32 v33, v15, 0x3f737871, v4
	v_fmac_f32_e32 v4, 0xbf737871, v15
	v_dual_fmac_f32 v17, 0xbf167918, v15 :: v_dual_sub_f32 v6, v6, v8
	s_delay_alu instid0(VALU_DEP_4) | instskip(NEXT) | instid1(VALU_DEP_4)
	v_dual_fmac_f32 v16, 0x3f167918, v15 :: v_dual_add_f32 v15, v11, v13
	v_fmac_f32_e32 v33, 0xbf167918, v18
	s_delay_alu instid0(VALU_DEP_4) | instskip(SKIP_4) | instid1(VALU_DEP_4)
	v_dual_add_f32 v21, v38, v35 :: v_dual_fmac_f32 v4, 0x3f167918, v18
	v_add_f32_e32 v18, v9, v7
	v_dual_fmac_f32 v17, 0x3e9e377a, v19 :: v_dual_add_f32 v8, v7, v5
	v_fma_f32 v15, -0.5, v15, v5
	v_sub_f32_e32 v10, v12, v10
	v_dual_fmac_f32 v5, -0.5, v18 :: v_dual_fmac_f32 v16, 0x3e9e377a, v19
	v_fmac_f32_e32 v33, 0x3e9e377a, v21
	v_fmac_f32_e32 v4, 0x3e9e377a, v21
	v_dual_fmamk_f32 v12, v6, 0x3f737871, v15 :: v_dual_sub_f32 v35, v11, v9
	v_dual_sub_f32 v19, v9, v11 :: v_dual_sub_f32 v18, v7, v13
	v_fmamk_f32 v21, v10, 0xbf737871, v5
	v_sub_f32_e32 v7, v13, v7
	v_fmac_f32_e32 v15, 0xbf737871, v6
	v_fmac_f32_e32 v5, 0x3f737871, v10
	;; [unrolled: 1-line block ×4, first 2 shown]
	v_add_f32_e32 v7, v35, v7
	v_add_f32_e32 v18, v19, v18
	v_fmac_f32_e32 v15, 0xbf167918, v10
	s_delay_alu instid0(VALU_DEP_3) | instskip(NEXT) | instid1(VALU_DEP_2)
	v_fmac_f32_e32 v21, 0x3e9e377a, v7
	v_fmac_f32_e32 v15, 0x3e9e377a, v18
	v_dual_fmac_f32 v5, 0xbf167918, v6 :: v_dual_add_f32 v6, v13, v8
	s_delay_alu instid0(VALU_DEP_3) | instskip(NEXT) | instid1(VALU_DEP_3)
	v_mul_f32_e32 v35, 0xbf737871, v21
	v_mul_f32_e32 v40, 0xbf167918, v15
	s_delay_alu instid0(VALU_DEP_3) | instskip(NEXT) | instid1(VALU_DEP_4)
	v_dual_fmac_f32 v12, 0x3e9e377a, v18 :: v_dual_fmac_f32 v5, 0x3e9e377a, v7
	v_add_f32_e32 v6, v11, v6
	s_delay_alu instid0(VALU_DEP_3) | instskip(NEXT) | instid1(VALU_DEP_3)
	v_dual_sub_f32 v11, v30, v14 :: v_dual_fmac_f32 v40, 0xbf4f1bbd, v16
	v_mul_f32_e32 v19, 0xbf167918, v12
	s_delay_alu instid0(VALU_DEP_3) | instskip(SKIP_3) | instid1(VALU_DEP_4)
	v_dual_mul_f32 v38, 0xbf737871, v5 :: v_dual_add_f32 v39, v9, v6
	v_mul_f32_e32 v42, 0xbe9e377a, v5
	v_add_f32_e32 v6, v14, v30
	v_add_f32_e32 v10, v29, v40
	v_fmac_f32_e32 v38, 0xbe9e377a, v4
	s_delay_alu instid0(VALU_DEP_4) | instskip(SKIP_1) | instid1(VALU_DEP_3)
	v_fmac_f32_e32 v42, 0x3f737871, v4
	v_dual_add_f32 v4, v39, v32 :: v_dual_mul_f32 v43, 0xbf4f1bbd, v15
	v_add_f32_e32 v9, v2, v38
	v_dual_mul_f32 v41, 0x3f167918, v17 :: v_dual_sub_f32 v18, v2, v38
	v_mul_u32_u24_e32 v2, 10, v22
	s_delay_alu instid0(VALU_DEP_4) | instskip(SKIP_2) | instid1(VALU_DEP_3)
	v_fmac_f32_e32 v43, 0x3f167918, v16
	v_fmac_f32_e32 v19, 0x3f4f1bbd, v17
	v_sub_f32_e32 v17, v32, v39
	v_dual_add_f32 v16, v37, v43 :: v_dual_fmac_f32 v35, 0x3e9e377a, v33
	s_delay_alu instid0(VALU_DEP_3) | instskip(SKIP_2) | instid1(VALU_DEP_4)
	v_dual_sub_f32 v14, v36, v19 :: v_dual_mul_f32 v33, 0x3f737871, v33
	v_add_f32_e32 v7, v36, v19
	v_sub_f32_e32 v19, v29, v40
	v_dual_add_f32 v8, v34, v35 :: v_dual_and_b32 v29, 0xff, v22
	s_delay_alu instid0(VALU_DEP_4) | instskip(SKIP_2) | instid1(VALU_DEP_2)
	v_fmac_f32_e32 v33, 0x3e9e377a, v21
	v_add_nc_u32_e32 v21, 0, v28
	v_sub_f32_e32 v15, v34, v35
	v_lshl_add_u32 v32, v2, 2, v21
	v_dual_sub_f32 v2, v3, v42 :: v_dual_fmac_f32 v41, 0x3f4f1bbd, v12
	v_add_f32_e32 v12, v20, v33
	ds_store_2addr_b64 v32, v[6:7], v[8:9] offset1:1
	ds_store_2addr_b64 v32, v[10:11], v[14:15] offset0:2 offset1:3
	ds_store_b64 v32, v[18:19] offset:32
	v_mad_i32_i24 v10, 0xffffffdc, v22, v32
	v_add_f32_e32 v5, v31, v41
	v_sub_f32_e32 v30, v31, v41
	v_sub_f32_e32 v31, v20, v33
	v_mul_lo_u16 v20, 0xcd, v29
	v_add_f32_e32 v13, v3, v42
	v_lshl_add_u32 v11, v22, 2, v21
	v_lshl_add_u32 v15, v26, 2, v21
	v_sub_f32_e32 v3, v37, v43
	v_lshrrev_b16 v18, 11, v20
	v_add_nc_u32_e32 v20, 0x200, v10
	v_lshl_add_u32 v29, v27, 2, v21
	v_lshl_add_u32 v14, v23, 2, v21
	global_wb scope:SCOPE_SE
	s_wait_dscnt 0x0
	v_mul_lo_u16 v6, v18, 10
	s_barrier_signal -1
	s_barrier_wait -1
	global_inv scope:SCOPE_SE
	ds_load_b32 v58, v11
	ds_load_b32 v19, v15
	;; [unrolled: 1-line block ×4, first 2 shown]
	ds_load_2addr_b32 v[8:9], v10 offset0:120 offset1:150
	ds_load_2addr_b32 v[38:39], v10 offset0:180 offset1:210
	v_sub_nc_u16 v6, v22, v6
	ds_load_2addr_b32 v[50:51], v20 offset0:112 offset1:142
	global_wb scope:SCOPE_SE
	s_wait_dscnt 0x0
	s_barrier_signal -1
	s_barrier_wait -1
	v_and_b32_e32 v34, 0xff, v6
	global_inv scope:SCOPE_SE
	ds_store_2addr_b64 v32, v[4:5], v[12:13] offset1:1
	ds_store_2addr_b64 v32, v[16:17], v[30:31] offset0:2 offset1:3
	ds_store_b64 v32, v[2:3] offset:32
	global_wb scope:SCOPE_SE
	s_wait_dscnt 0x0
	s_barrier_signal -1
	v_mul_u32_u24_e32 v6, 9, v34
	s_barrier_wait -1
	global_inv scope:SCOPE_SE
	v_lshlrev_b32_e32 v2, 3, v6
	s_clause 0x4
	global_load_b128 v[4:7], v2, s[4:5]
	global_load_b128 v[30:33], v2, s[4:5] offset:16
	global_load_b128 v[42:45], v2, s[4:5] offset:32
	global_load_b128 v[46:49], v2, s[4:5] offset:48
	global_load_b64 v[12:13], v2, s[4:5] offset:64
	v_and_b32_e32 v3, 0xffff, v18
	ds_load_b32 v2, v15
	ds_load_b32 v35, v29
	;; [unrolled: 1-line block ×3, first 2 shown]
	ds_load_2addr_b32 v[52:53], v10 offset0:120 offset1:150
	v_mad_u32_u24 v16, 0x190, v3, 0
	ds_load_2addr_b32 v[54:55], v10 offset0:180 offset1:210
	ds_load_b32 v3, v11
	ds_load_2addr_b32 v[56:57], v20 offset0:112 offset1:142
	global_wb scope:SCOPE_SE
	s_wait_loadcnt_dscnt 0x0
	s_barrier_signal -1
	s_barrier_wait -1
	global_inv scope:SCOPE_SE
	v_mul_f32_e32 v40, v8, v33
	v_mul_f32_e32 v36, v54, v45
	;; [unrolled: 1-line block ×3, first 2 shown]
	v_dual_mul_f32 v62, v57, v13 :: v_dual_lshlrev_b32 v17, 2, v34
	v_mul_f32_e32 v34, v52, v33
	s_delay_alu instid0(VALU_DEP_4) | instskip(NEXT) | instid1(VALU_DEP_4)
	v_fmac_f32_e32 v36, v38, v44
	v_fma_f32 v38, v54, v44, -v60
	s_delay_alu instid0(VALU_DEP_4) | instskip(SKIP_3) | instid1(VALU_DEP_2)
	v_fmac_f32_e32 v62, v51, v12
	v_add3_u32 v16, v16, v17, v28
	v_mul_f32_e32 v28, v18, v31
	v_fmac_f32_e32 v34, v8, v32
	v_dual_fmac_f32 v28, v37, v30 :: v_dual_mul_f32 v45, v56, v49
	v_mul_f32_e32 v49, v50, v49
	s_delay_alu instid0(VALU_DEP_2) | instskip(NEXT) | instid1(VALU_DEP_3)
	v_dual_mul_f32 v13, v51, v13 :: v_dual_add_f32 v44, v28, v62
	v_fmac_f32_e32 v45, v50, v48
	s_delay_alu instid0(VALU_DEP_1) | instskip(NEXT) | instid1(VALU_DEP_1)
	v_dual_mul_f32 v41, v35, v7 :: v_dual_sub_f32 v8, v45, v36
	v_fmac_f32_e32 v41, v21, v6
	v_mul_f32_e32 v7, v21, v7
	v_mul_f32_e32 v31, v37, v31
	v_fma_f32 v37, v52, v32, -v40
	v_mul_f32_e32 v17, v2, v5
	v_mul_f32_e32 v5, v19, v5
	v_fma_f32 v35, v35, v6, -v7
	v_fma_f32 v33, v18, v30, -v31
	s_delay_alu instid0(VALU_DEP_4)
	v_dual_sub_f32 v6, v37, v38 :: v_dual_fmac_f32 v17, v19, v4
	v_mul_f32_e32 v61, v55, v47
	v_mul_f32_e32 v47, v39, v47
	v_fma_f32 v19, v2, v4, -v5
	v_add_f32_e32 v2, v58, v41
	v_add_f32_e32 v30, v17, v28
	;; [unrolled: 1-line block ×3, first 2 shown]
	v_fma_f32 v21, v55, v46, -v47
	v_mul_f32_e32 v59, v53, v43
	v_dual_mul_f32 v43, v9, v43 :: v_dual_add_f32 v2, v2, v34
	s_delay_alu instid0(VALU_DEP_4) | instskip(NEXT) | instid1(VALU_DEP_2)
	v_fma_f32 v4, -0.5, v4, v58
	v_fma_f32 v32, v53, v42, -v43
	s_delay_alu instid0(VALU_DEP_3) | instskip(NEXT) | instid1(VALU_DEP_2)
	v_dual_fmac_f32 v61, v39, v46 :: v_dual_add_f32 v2, v2, v36
	v_sub_f32_e32 v52, v33, v32
	v_dual_sub_f32 v50, v32, v21 :: v_dual_fmac_f32 v59, v9, v42
	s_delay_alu instid0(VALU_DEP_1) | instskip(SKIP_4) | instid1(VALU_DEP_4)
	v_sub_f32_e32 v42, v28, v59
	v_fma_f32 v40, v56, v48, -v49
	v_sub_f32_e32 v46, v59, v28
	v_sub_f32_e32 v28, v28, v62
	v_fma_f32 v18, v57, v12, -v13
	v_dual_add_f32 v48, v32, v21 :: v_dual_sub_f32 v5, v35, v40
	v_sub_f32_e32 v47, v61, v62
	s_delay_alu instid0(VALU_DEP_3)
	v_sub_f32_e32 v56, v21, v18
	v_add_f32_e32 v9, v41, v45
	v_sub_f32_e32 v13, v36, v45
	v_sub_f32_e32 v53, v18, v21
	;; [unrolled: 1-line block ×4, first 2 shown]
	v_dual_fmac_f32 v58, -0.5, v9 :: v_dual_sub_f32 v7, v41, v34
	v_sub_f32_e32 v12, v34, v41
	v_add_f32_e32 v54, v33, v18
	s_delay_alu instid0(VALU_DEP_3) | instskip(NEXT) | instid1(VALU_DEP_3)
	v_dual_add_f32 v2, v2, v45 :: v_dual_add_f32 v7, v7, v8
	v_dual_add_f32 v8, v12, v13 :: v_dual_add_f32 v9, v30, v59
	v_add_f32_e32 v30, v52, v53
	v_dual_fmamk_f32 v52, v5, 0xbf737871, v4 :: v_dual_add_f32 v31, v59, v61
	v_fmac_f32_e32 v4, 0x3f737871, v5
	s_delay_alu instid0(VALU_DEP_2) | instskip(NEXT) | instid1(VALU_DEP_2)
	v_fmac_f32_e32 v52, 0xbf167918, v6
	v_fmac_f32_e32 v4, 0x3f167918, v6
	s_delay_alu instid0(VALU_DEP_2)
	v_fmac_f32_e32 v52, 0x3e9e377a, v7
	v_fmamk_f32 v53, v6, 0x3f737871, v58
	v_fmac_f32_e32 v58, 0xbf737871, v6
	v_fma_f32 v39, -0.5, v31, v17
	v_fmac_f32_e32 v17, -0.5, v44
	v_sub_f32_e32 v51, v59, v61
	s_delay_alu instid0(VALU_DEP_4) | instskip(NEXT) | instid1(VALU_DEP_4)
	v_dual_add_f32 v13, v46, v47 :: v_dual_fmac_f32 v58, 0x3f167918, v5
	v_fmamk_f32 v44, v49, 0xbf737871, v39
	v_add_f32_e32 v12, v42, v43
	v_fma_f32 v42, -0.5, v48, v19
	v_sub_f32_e32 v55, v32, v33
	v_fma_f32 v43, -0.5, v54, v19
	v_fmamk_f32 v46, v50, 0x3f737871, v17
	v_fmac_f32_e32 v44, 0xbf167918, v50
	v_fmamk_f32 v48, v28, 0x3f737871, v42
	v_fmac_f32_e32 v42, 0xbf737871, v28
	v_add_f32_e32 v31, v55, v56
	v_fmamk_f32 v47, v51, 0xbf737871, v43
	v_fmac_f32_e32 v58, 0x3e9e377a, v8
	v_fmac_f32_e32 v43, 0x3f737871, v51
	;; [unrolled: 1-line block ×3, first 2 shown]
	v_dual_add_f32 v9, v9, v61 :: v_dual_fmac_f32 v48, 0x3f167918, v51
	v_fmac_f32_e32 v4, 0x3e9e377a, v7
	s_delay_alu instid0(VALU_DEP_4) | instskip(SKIP_3) | instid1(VALU_DEP_4)
	v_fmac_f32_e32 v43, 0xbf167918, v28
	v_fmac_f32_e32 v44, 0x3e9e377a, v12
	;; [unrolled: 1-line block ×6, first 2 shown]
	s_delay_alu instid0(VALU_DEP_4) | instskip(NEXT) | instid1(VALU_DEP_2)
	v_fmac_f32_e32 v47, 0x3e9e377a, v31
	v_fmac_f32_e32 v17, 0x3f167918, v49
	;; [unrolled: 1-line block ×3, first 2 shown]
	s_delay_alu instid0(VALU_DEP_3) | instskip(NEXT) | instid1(VALU_DEP_3)
	v_mul_f32_e32 v7, 0xbf737871, v47
	v_fmac_f32_e32 v17, 0x3e9e377a, v13
	s_delay_alu instid0(VALU_DEP_3) | instskip(NEXT) | instid1(VALU_DEP_1)
	v_mul_f32_e32 v6, 0xbf167918, v48
	v_fmac_f32_e32 v6, 0x3f4f1bbd, v44
	s_delay_alu instid0(VALU_DEP_1) | instskip(SKIP_2) | instid1(VALU_DEP_3)
	v_dual_fmac_f32 v46, 0x3e9e377a, v13 :: v_dual_add_f32 v13, v52, v6
	v_dual_sub_f32 v6, v52, v6 :: v_dual_fmac_f32 v53, 0xbf167918, v5
	v_add_f32_e32 v5, v9, v62
	v_fmac_f32_e32 v7, 0x3e9e377a, v46
	s_delay_alu instid0(VALU_DEP_3) | instskip(SKIP_2) | instid1(VALU_DEP_3)
	v_dual_fmac_f32 v42, 0x3e9e377a, v30 :: v_dual_fmac_f32 v53, 0x3e9e377a, v8
	v_fmac_f32_e32 v39, 0x3f737871, v49
	v_mul_f32_e32 v8, 0xbf737871, v43
	v_add_f32_e32 v28, v53, v7
	s_delay_alu instid0(VALU_DEP_2) | instskip(NEXT) | instid1(VALU_DEP_1)
	v_dual_sub_f32 v7, v53, v7 :: v_dual_fmac_f32 v8, 0xbe9e377a, v17
	v_dual_fmac_f32 v39, 0x3f167918, v50 :: v_dual_add_f32 v30, v58, v8
	v_sub_f32_e32 v8, v58, v8
	s_delay_alu instid0(VALU_DEP_2) | instskip(SKIP_2) | instid1(VALU_DEP_1)
	v_dual_fmac_f32 v39, 0x3e9e377a, v12 :: v_dual_add_f32 v12, v2, v5
	v_sub_f32_e32 v5, v2, v5
	v_mul_f32_e32 v9, 0xbf167918, v42
	v_fmac_f32_e32 v9, 0xbf4f1bbd, v39
	s_delay_alu instid0(VALU_DEP_1)
	v_add_f32_e32 v31, v4, v9
	v_sub_f32_e32 v2, v4, v9
	ds_store_2addr_b32 v16, v12, v13 offset1:10
	ds_store_2addr_b32 v16, v28, v30 offset0:20 offset1:30
	ds_store_2addr_b32 v16, v31, v5 offset0:40 offset1:50
	;; [unrolled: 1-line block ×4, first 2 shown]
	global_wb scope:SCOPE_SE
	s_wait_dscnt 0x0
	s_barrier_signal -1
	s_barrier_wait -1
	global_inv scope:SCOPE_SE
	ds_load_2addr_b32 v[6:7], v10 offset0:100 offset1:130
	ds_load_2addr_b32 v[8:9], v10 offset0:160 offset1:200
	;; [unrolled: 1-line block ×3, first 2 shown]
	ds_load_b32 v28, v11
	ds_load_b32 v30, v15
	;; [unrolled: 1-line block ×3, first 2 shown]
                                        ; implicit-def: $vgpr5
	s_and_saveexec_b32 s1, s0
	s_cbranch_execz .LBB0_15
; %bb.14:
	ds_load_b32 v2, v14
	ds_load_2addr_b32 v[4:5], v20 offset0:62 offset1:162
.LBB0_15:
	s_wait_alu 0xfffe
	s_or_b32 exec_lo, exec_lo, s1
	v_dual_add_f32 v49, v3, v35 :: v_dual_add_f32 v50, v37, v38
	v_add_f32_e32 v19, v19, v33
	v_dual_sub_f32 v41, v41, v45 :: v_dual_sub_f32 v52, v40, v38
	s_delay_alu instid0(VALU_DEP_3) | instskip(NEXT) | instid1(VALU_DEP_4)
	v_add_f32_e32 v49, v49, v37
	v_fma_f32 v50, -0.5, v50, v3
	v_add_f32_e32 v51, v35, v40
	v_add_f32_e32 v19, v19, v32
	v_dual_sub_f32 v45, v35, v37 :: v_dual_sub_f32 v34, v34, v36
	s_delay_alu instid0(VALU_DEP_3) | instskip(NEXT) | instid1(VALU_DEP_3)
	v_dual_add_f32 v36, v49, v38 :: v_dual_fmac_f32 v3, -0.5, v51
	v_add_f32_e32 v19, v19, v21
	v_fmamk_f32 v49, v41, 0x3f737871, v50
	s_delay_alu instid0(VALU_DEP_4) | instskip(SKIP_3) | instid1(VALU_DEP_4)
	v_dual_fmac_f32 v50, 0xbf737871, v41 :: v_dual_add_f32 v45, v45, v52
	v_mul_f32_e32 v21, 0x3f4f1bbd, v48
	v_mul_f32_e32 v32, 0x3e9e377a, v47
	v_add_f32_e32 v18, v19, v18
	v_dual_fmac_f32 v50, 0xbf167918, v34 :: v_dual_sub_f32 v35, v37, v35
	v_sub_f32_e32 v37, v38, v40
	v_fmac_f32_e32 v21, 0x3f167918, v44
	v_fmamk_f32 v51, v34, 0xbf737871, v3
	s_delay_alu instid0(VALU_DEP_4)
	v_fmac_f32_e32 v50, 0x3e9e377a, v45
	v_fmac_f32_e32 v49, 0x3f167918, v34
	v_dual_add_f32 v33, v35, v37 :: v_dual_fmac_f32 v32, 0x3f737871, v46
	v_fmac_f32_e32 v3, 0x3f737871, v34
	v_mul_f32_e32 v34, 0x3f4f1bbd, v42
	v_add_f32_e32 v36, v36, v40
	global_wb scope:SCOPE_SE
	s_wait_dscnt 0x0
	s_barrier_signal -1
	s_barrier_wait -1
	v_fma_f32 v19, 0x3f167918, v39, -v34
	global_inv scope:SCOPE_SE
	v_dual_add_f32 v38, v50, v19 :: v_dual_fmac_f32 v49, 0x3e9e377a, v45
	s_delay_alu instid0(VALU_DEP_1) | instskip(SKIP_2) | instid1(VALU_DEP_2)
	v_add_f32_e32 v34, v49, v21
	v_fmac_f32_e32 v51, 0x3f167918, v41
	v_sub_f32_e32 v21, v49, v21
	v_fmac_f32_e32 v51, 0x3e9e377a, v33
	s_delay_alu instid0(VALU_DEP_1) | instskip(SKIP_1) | instid1(VALU_DEP_1)
	v_add_f32_e32 v35, v51, v32
	v_dual_sub_f32 v32, v51, v32 :: v_dual_fmac_f32 v3, 0xbf167918, v41
	v_fmac_f32_e32 v3, 0x3e9e377a, v33
	v_mul_f32_e32 v33, 0x3e9e377a, v43
	s_delay_alu instid0(VALU_DEP_1) | instskip(SKIP_1) | instid1(VALU_DEP_2)
	v_fma_f32 v17, 0x3f737871, v17, -v33
	v_add_f32_e32 v33, v36, v18
	v_dual_sub_f32 v18, v36, v18 :: v_dual_add_f32 v37, v3, v17
	v_sub_f32_e32 v17, v3, v17
	v_sub_f32_e32 v3, v50, v19
	ds_store_2addr_b32 v16, v33, v34 offset1:10
	ds_store_2addr_b32 v16, v35, v37 offset0:20 offset1:30
	ds_store_2addr_b32 v16, v38, v18 offset0:40 offset1:50
	;; [unrolled: 1-line block ×4, first 2 shown]
	global_wb scope:SCOPE_SE
	s_wait_dscnt 0x0
	s_barrier_signal -1
	s_barrier_wait -1
	global_inv scope:SCOPE_SE
	ds_load_2addr_b32 v[16:17], v10 offset0:100 offset1:130
	ds_load_2addr_b32 v[18:19], v10 offset0:160 offset1:200
	;; [unrolled: 1-line block ×3, first 2 shown]
	ds_load_b32 v32, v11
	ds_load_b32 v33, v15
	;; [unrolled: 1-line block ×3, first 2 shown]
                                        ; implicit-def: $vgpr11
	s_and_saveexec_b32 s1, s0
	s_cbranch_execz .LBB0_17
; %bb.16:
	v_add_nc_u32_e32 v10, 0x200, v10
	ds_load_b32 v3, v14
	ds_load_2addr_b32 v[10:11], v10 offset0:62 offset1:162
.LBB0_17:
	s_wait_alu 0xfffe
	s_or_b32 exec_lo, exec_lo, s1
	s_and_saveexec_b32 s1, vcc_lo
	s_cbranch_execz .LBB0_20
; %bb.18:
	v_dual_mov_b32 v15, 0 :: v_dual_lshlrev_b32 v14, 1, v27
	v_mad_co_u64_u32 v[46:47], null, s8, v24, 0
	v_add_nc_u32_e32 v62, 0xe6, v22
	v_mul_hi_u32 v56, 0x51eb851f, v25
	s_delay_alu instid0(VALU_DEP_4) | instskip(SKIP_1) | instid1(VALU_DEP_4)
	v_lshlrev_b64_e32 v[34:35], 3, v[14:15]
	v_lshlrev_b32_e32 v14, 1, v26
	v_mad_co_u64_u32 v[54:55], null, s8, v62, 0
	v_add_nc_u32_e32 v60, 0xc8, v22
	s_delay_alu instid0(VALU_DEP_4) | instskip(NEXT) | instid1(VALU_DEP_4)
	v_add_co_u32 v26, vcc_lo, s4, v34
	v_lshlrev_b64_e32 v[38:39], 3, v[14:15]
	s_wait_alu 0xfffd
	v_add_co_ci_u32_e32 v27, vcc_lo, s5, v35, vcc_lo
	v_mad_co_u64_u32 v[50:51], null, s8, v60, 0
	v_lshlrev_b32_e32 v14, 1, v22
	global_load_b128 v[34:37], v[26:27], off offset:720
	v_add_co_u32 v26, vcc_lo, s4, v38
	s_wait_alu 0xfffd
	v_add_co_ci_u32_e32 v27, vcc_lo, s5, v39, vcc_lo
	v_lshrrev_b32_e32 v63, 5, v56
	global_load_b128 v[38:41], v[26:27], off offset:720
	v_lshlrev_b64_e32 v[26:27], 3, v[14:15]
	v_mad_u32_u24 v65, 0xc8, v63, v25
	s_delay_alu instid0(VALU_DEP_2) | instskip(SKIP_1) | instid1(VALU_DEP_3)
	v_add_co_u32 v26, vcc_lo, s4, v26
	s_wait_alu 0xfffd
	v_add_co_ci_u32_e32 v27, vcc_lo, s5, v27, vcc_lo
	v_add_co_u32 v0, vcc_lo, s10, v0
	s_wait_alu 0xfffd
	v_add_co_ci_u32_e32 v1, vcc_lo, s11, v1, vcc_lo
	global_load_b128 v[42:45], v[26:27], off offset:720
	v_mad_co_u64_u32 v[26:27], null, s8, v22, 0
	v_add_nc_u32_e32 v59, 0x64, v22
	s_delay_alu instid0(VALU_DEP_2) | instskip(NEXT) | instid1(VALU_DEP_2)
	v_dual_mov_b32 v14, v27 :: v_dual_add_nc_u32 v67, 0xc8, v65
	v_mad_co_u64_u32 v[48:49], null, s8, v59, 0
	v_add_nc_u32_e32 v61, 0x82, v22
	v_mov_b32_e32 v27, v47
	s_delay_alu instid0(VALU_DEP_4)
	v_mad_co_u64_u32 v[56:57], null, s9, v22, v[14:15]
	v_mov_b32_e32 v47, v51
	v_mad_co_u64_u32 v[63:64], null, s8, v67, 0
	v_mov_b32_e32 v14, v49
	v_mad_co_u64_u32 v[52:53], null, s8, v61, 0
	v_mad_co_u64_u32 v[57:58], null, s9, v24, v[27:28]
	v_mov_b32_e32 v27, v55
	s_delay_alu instid0(VALU_DEP_4) | instskip(SKIP_3) | instid1(VALU_DEP_2)
	v_mad_co_u64_u32 v[58:59], null, s9, v59, v[14:15]
	v_mad_co_u64_u32 v[59:60], null, s9, v60, v[47:48]
	v_mov_b32_e32 v24, v53
	v_dual_mov_b32 v47, v57 :: v_dual_add_nc_u32 v66, 0x64, v65
	v_mad_co_u64_u32 v[24:25], null, s9, v61, v[24:25]
	v_mad_co_u64_u32 v[60:61], null, s9, v62, v[27:28]
	;; [unrolled: 1-line block ×3, first 2 shown]
	v_mov_b32_e32 v27, v56
	v_mad_co_u64_u32 v[56:57], null, s8, v66, 0
	v_mov_b32_e32 v49, v58
	v_mov_b32_e32 v51, v59
	s_delay_alu instid0(VALU_DEP_4) | instskip(SKIP_4) | instid1(VALU_DEP_4)
	v_lshlrev_b64_e32 v[25:26], 3, v[26:27]
	v_dual_mov_b32 v14, v62 :: v_dual_mov_b32 v53, v24
	v_mov_b32_e32 v24, v64
	v_lshlrev_b64_e32 v[46:47], 3, v[46:47]
	v_lshlrev_b64_e32 v[48:49], 3, v[48:49]
	v_mad_co_u64_u32 v[58:59], null, s9, v65, v[14:15]
	v_dual_mov_b32 v14, v57 :: v_dual_mov_b32 v55, v60
	v_add_co_u32 v25, vcc_lo, v0, v25
	s_wait_alu 0xfffd
	v_add_co_ci_u32_e32 v26, vcc_lo, v1, v26, vcc_lo
	s_delay_alu instid0(VALU_DEP_4)
	v_mov_b32_e32 v62, v58
	v_mad_co_u64_u32 v[59:60], null, s9, v66, v[14:15]
	v_mad_co_u64_u32 v[64:65], null, s9, v67, v[24:25]
	v_lshlrev_b64_e32 v[50:51], 3, v[50:51]
	v_add_co_u32 v46, vcc_lo, v0, v46
	s_wait_alu 0xfffd
	v_add_co_ci_u32_e32 v47, vcc_lo, v1, v47, vcc_lo
	v_mov_b32_e32 v57, v59
	v_lshlrev_b64_e32 v[52:53], 3, v[52:53]
	v_add_co_u32 v48, vcc_lo, v0, v48
	s_wait_alu 0xfffd
	v_add_co_ci_u32_e32 v49, vcc_lo, v1, v49, vcc_lo
	v_lshlrev_b64_e32 v[54:55], 3, v[54:55]
	v_add_co_u32 v50, vcc_lo, v0, v50
	s_wait_alu 0xfffd
	v_add_co_ci_u32_e32 v51, vcc_lo, v1, v51, vcc_lo
	v_add_co_u32 v52, vcc_lo, v0, v52
	v_lshlrev_b64_e32 v[60:61], 3, v[61:62]
	s_wait_alu 0xfffd
	v_add_co_ci_u32_e32 v53, vcc_lo, v1, v53, vcc_lo
	v_add_co_u32 v54, vcc_lo, v0, v54
	s_wait_alu 0xfffd
	v_add_co_ci_u32_e32 v55, vcc_lo, v1, v55, vcc_lo
	v_lshlrev_b64_e32 v[58:59], 3, v[63:64]
	v_add_co_u32 v60, vcc_lo, v0, v60
	s_wait_alu 0xfffd
	v_add_co_ci_u32_e32 v61, vcc_lo, v1, v61, vcc_lo
	s_wait_loadcnt 0x2
	v_mul_f32_e32 v14, v8, v35
	s_wait_dscnt 0x4
	v_dual_mul_f32 v24, v13, v37 :: v_dual_mul_f32 v27, v18, v35
	s_wait_dscnt 0x3
	v_mul_f32_e32 v35, v21, v37
	v_lshlrev_b64_e32 v[56:57], 3, v[56:57]
	v_fma_f32 v14, v18, v34, -v14
	v_fma_f32 v18, v21, v36, -v24
	s_wait_loadcnt 0x1
	v_dual_fmac_f32 v27, v8, v34 :: v_dual_mul_f32 v8, v7, v39
	v_dual_fmac_f32 v35, v13, v36 :: v_dual_mul_f32 v24, v20, v41
	s_delay_alu instid0(VALU_DEP_3) | instskip(SKIP_2) | instid1(VALU_DEP_3)
	v_dual_mul_f32 v13, v12, v41 :: v_dual_add_f32 v34, v14, v18
	v_mul_f32_e32 v21, v17, v39
	s_wait_dscnt 0x0
	v_dual_add_f32 v37, v29, v14 :: v_dual_fmac_f32 v24, v12, v40
	v_sub_f32_e32 v14, v14, v18
	v_fma_f32 v17, v17, v38, -v8
	v_fma_f32 v20, v20, v40, -v13
	v_fma_f32 v8, -0.5, v34, v29
	v_fmac_f32_e32 v21, v7, v38
	v_add_f32_e32 v13, v37, v18
	s_wait_loadcnt 0x0
	v_dual_add_f32 v29, v33, v17 :: v_dual_mul_f32 v38, v6, v43
	v_sub_f32_e32 v36, v27, v35
	v_dual_add_f32 v39, v27, v35 :: v_dual_mul_f32 v40, v9, v45
	v_dual_add_f32 v27, v31, v27 :: v_dual_add_f32 v18, v17, v20
	v_sub_f32_e32 v37, v17, v20
	s_delay_alu instid0(VALU_DEP_3)
	v_fma_f32 v7, -0.5, v39, v31
	v_fmamk_f32 v17, v36, 0xbf5db3d7, v8
	v_dual_fmac_f32 v8, 0x3f5db3d7, v36 :: v_dual_mul_f32 v41, v16, v43
	v_add_f32_e32 v34, v30, v21
	v_mul_f32_e32 v43, v19, v45
	v_dual_add_f32 v12, v27, v35 :: v_dual_sub_f32 v27, v21, v24
	v_fma_f32 v35, v16, v42, -v38
	v_fma_f32 v38, v19, v44, -v40
	v_dual_add_f32 v31, v21, v24 :: v_dual_fmamk_f32 v16, v14, 0x3f5db3d7, v7
	v_fmac_f32_e32 v43, v9, v44
	s_delay_alu instid0(VALU_DEP_4)
	v_dual_fmac_f32 v7, 0xbf5db3d7, v14 :: v_dual_add_f32 v14, v32, v35
	v_fmac_f32_e32 v41, v6, v42
	v_fma_f32 v19, -0.5, v18, v33
	v_add_f32_e32 v6, v35, v38
	v_fma_f32 v18, -0.5, v31, v30
	v_dual_sub_f32 v30, v35, v38 :: v_dual_add_f32 v21, v29, v20
	v_add_f32_e32 v20, v34, v24
	v_add_f32_e32 v24, v41, v43
	;; [unrolled: 1-line block ×3, first 2 shown]
	v_fma_f32 v29, -0.5, v6, v32
	v_add_co_u32 v56, vcc_lo, v0, v56
	s_delay_alu instid0(VALU_DEP_4) | instskip(NEXT) | instid1(VALU_DEP_4)
	v_fma_f32 v28, -0.5, v24, v28
	v_dual_add_f32 v32, v34, v43 :: v_dual_fmamk_f32 v31, v27, 0xbf5db3d7, v19
	v_add_f32_e32 v33, v14, v38
	s_wait_alu 0xfffd
	v_add_co_ci_u32_e32 v57, vcc_lo, v1, v57, vcc_lo
	v_dual_fmamk_f32 v34, v30, 0x3f5db3d7, v28 :: v_dual_fmac_f32 v19, 0x3f5db3d7, v27
	v_fmac_f32_e32 v28, 0xbf5db3d7, v30
	v_fmamk_f32 v30, v37, 0x3f5db3d7, v18
	v_dual_sub_f32 v9, v41, v43 :: v_dual_fmac_f32 v18, 0xbf5db3d7, v37
	v_add_co_u32 v58, vcc_lo, v0, v58
	s_wait_alu 0xfffd
	v_add_co_ci_u32_e32 v59, vcc_lo, v1, v59, vcc_lo
	s_delay_alu instid0(VALU_DEP_3)
	v_fmamk_f32 v35, v9, 0xbf5db3d7, v29
	v_fmac_f32_e32 v29, 0x3f5db3d7, v9
	s_clause 0x8
	global_store_b64 v[25:26], v[32:33], off
	global_store_b64 v[48:49], v[28:29], off
	;; [unrolled: 1-line block ×9, first 2 shown]
	s_and_b32 exec_lo, exec_lo, s0
	s_cbranch_execz .LBB0_20
; %bb.19:
	v_add_nc_u32_e32 v6, -10, v22
	v_add_nc_u32_e32 v18, 0x5a, v22
	s_delay_alu instid0(VALU_DEP_2) | instskip(NEXT) | instid1(VALU_DEP_2)
	v_cndmask_b32_e64 v6, v6, v23, s0
	v_mad_co_u64_u32 v[12:13], null, s8, v18, 0
	s_delay_alu instid0(VALU_DEP_2) | instskip(NEXT) | instid1(VALU_DEP_1)
	v_lshlrev_b32_e32 v14, 1, v6
	v_lshlrev_b64_e32 v[6:7], 3, v[14:15]
	s_delay_alu instid0(VALU_DEP_1) | instskip(SKIP_1) | instid1(VALU_DEP_2)
	v_add_co_u32 v6, vcc_lo, s4, v6
	s_wait_alu 0xfffd
	v_add_co_ci_u32_e32 v7, vcc_lo, s5, v7, vcc_lo
	global_load_b128 v[6:9], v[6:7], off offset:720
	v_add_nc_u32_e32 v20, 0xbe, v22
	v_add_nc_u32_e32 v21, 0x122, v22
	s_delay_alu instid0(VALU_DEP_2) | instskip(NEXT) | instid1(VALU_DEP_2)
	v_mad_co_u64_u32 v[14:15], null, s8, v20, 0
	v_mad_co_u64_u32 v[16:17], null, s8, v21, 0
	s_delay_alu instid0(VALU_DEP_2) | instskip(NEXT) | instid1(VALU_DEP_2)
	v_mad_co_u64_u32 v[18:19], null, s9, v18, v[13:14]
	v_mad_co_u64_u32 v[19:20], null, s9, v20, v[15:16]
	s_delay_alu instid0(VALU_DEP_2) | instskip(SKIP_1) | instid1(VALU_DEP_3)
	v_mad_co_u64_u32 v[20:21], null, s9, v21, v[17:18]
	v_mov_b32_e32 v13, v18
	v_mov_b32_e32 v15, v19
	s_delay_alu instid0(VALU_DEP_2) | instskip(NEXT) | instid1(VALU_DEP_4)
	v_lshlrev_b64_e32 v[12:13], 3, v[12:13]
	v_mov_b32_e32 v17, v20
	s_delay_alu instid0(VALU_DEP_3) | instskip(NEXT) | instid1(VALU_DEP_3)
	v_lshlrev_b64_e32 v[14:15], 3, v[14:15]
	v_add_co_u32 v12, vcc_lo, v0, v12
	s_delay_alu instid0(VALU_DEP_3) | instskip(SKIP_2) | instid1(VALU_DEP_4)
	v_lshlrev_b64_e32 v[16:17], 3, v[16:17]
	s_wait_alu 0xfffd
	v_add_co_ci_u32_e32 v13, vcc_lo, v1, v13, vcc_lo
	v_add_co_u32 v14, vcc_lo, v0, v14
	s_wait_alu 0xfffd
	v_add_co_ci_u32_e32 v15, vcc_lo, v1, v15, vcc_lo
	v_add_co_u32 v0, vcc_lo, v0, v16
	s_wait_alu 0xfffd
	v_add_co_ci_u32_e32 v1, vcc_lo, v1, v17, vcc_lo
	s_wait_loadcnt 0x0
	v_mul_f32_e32 v18, v10, v7
	v_mul_f32_e32 v7, v4, v7
	s_delay_alu instid0(VALU_DEP_2) | instskip(NEXT) | instid1(VALU_DEP_2)
	v_dual_mul_f32 v19, v11, v9 :: v_dual_fmac_f32 v18, v4, v6
	v_fma_f32 v4, v10, v6, -v7
	s_delay_alu instid0(VALU_DEP_2) | instskip(SKIP_1) | instid1(VALU_DEP_3)
	v_fmac_f32_e32 v19, v5, v8
	v_mul_f32_e32 v9, v5, v9
	v_dual_add_f32 v7, v2, v18 :: v_dual_add_f32 v10, v3, v4
	s_delay_alu instid0(VALU_DEP_3) | instskip(NEXT) | instid1(VALU_DEP_3)
	v_add_f32_e32 v6, v18, v19
	v_fma_f32 v5, v11, v8, -v9
	s_delay_alu instid0(VALU_DEP_2) | instskip(NEXT) | instid1(VALU_DEP_2)
	v_fmac_f32_e32 v2, -0.5, v6
	v_add_f32_e32 v8, v4, v5
	v_sub_f32_e32 v9, v4, v5
	v_sub_f32_e32 v11, v18, v19
	v_dual_add_f32 v4, v7, v19 :: v_dual_add_f32 v5, v10, v5
	s_delay_alu instid0(VALU_DEP_3) | instskip(NEXT) | instid1(VALU_DEP_1)
	v_dual_fmac_f32 v3, -0.5, v8 :: v_dual_fmamk_f32 v6, v9, 0xbf5db3d7, v2
	v_dual_fmac_f32 v2, 0x3f5db3d7, v9 :: v_dual_fmamk_f32 v7, v11, 0x3f5db3d7, v3
	v_fmac_f32_e32 v3, 0xbf5db3d7, v11
	s_clause 0x2
	global_store_b64 v[12:13], v[4:5], off
	global_store_b64 v[14:15], v[6:7], off
	;; [unrolled: 1-line block ×3, first 2 shown]
.LBB0_20:
	s_nop 0
	s_sendmsg sendmsg(MSG_DEALLOC_VGPRS)
	s_endpgm
	.section	.rodata,"a",@progbits
	.p2align	6, 0x0
	.amdhsa_kernel fft_rtc_back_len300_factors_10_10_3_wgs_60_tpt_30_halfLds_sp_ip_CI_sbrr_dirReg
		.amdhsa_group_segment_fixed_size 0
		.amdhsa_private_segment_fixed_size 0
		.amdhsa_kernarg_size 88
		.amdhsa_user_sgpr_count 2
		.amdhsa_user_sgpr_dispatch_ptr 0
		.amdhsa_user_sgpr_queue_ptr 0
		.amdhsa_user_sgpr_kernarg_segment_ptr 1
		.amdhsa_user_sgpr_dispatch_id 0
		.amdhsa_user_sgpr_private_segment_size 0
		.amdhsa_wavefront_size32 1
		.amdhsa_uses_dynamic_stack 0
		.amdhsa_enable_private_segment 0
		.amdhsa_system_sgpr_workgroup_id_x 1
		.amdhsa_system_sgpr_workgroup_id_y 0
		.amdhsa_system_sgpr_workgroup_id_z 0
		.amdhsa_system_sgpr_workgroup_info 0
		.amdhsa_system_vgpr_workitem_id 0
		.amdhsa_next_free_vgpr 68
		.amdhsa_next_free_sgpr 35
		.amdhsa_reserve_vcc 1
		.amdhsa_float_round_mode_32 0
		.amdhsa_float_round_mode_16_64 0
		.amdhsa_float_denorm_mode_32 3
		.amdhsa_float_denorm_mode_16_64 3
		.amdhsa_fp16_overflow 0
		.amdhsa_workgroup_processor_mode 1
		.amdhsa_memory_ordered 1
		.amdhsa_forward_progress 0
		.amdhsa_round_robin_scheduling 0
		.amdhsa_exception_fp_ieee_invalid_op 0
		.amdhsa_exception_fp_denorm_src 0
		.amdhsa_exception_fp_ieee_div_zero 0
		.amdhsa_exception_fp_ieee_overflow 0
		.amdhsa_exception_fp_ieee_underflow 0
		.amdhsa_exception_fp_ieee_inexact 0
		.amdhsa_exception_int_div_zero 0
	.end_amdhsa_kernel
	.text
.Lfunc_end0:
	.size	fft_rtc_back_len300_factors_10_10_3_wgs_60_tpt_30_halfLds_sp_ip_CI_sbrr_dirReg, .Lfunc_end0-fft_rtc_back_len300_factors_10_10_3_wgs_60_tpt_30_halfLds_sp_ip_CI_sbrr_dirReg
                                        ; -- End function
	.section	.AMDGPU.csdata,"",@progbits
; Kernel info:
; codeLenInByte = 6688
; NumSgprs: 37
; NumVgprs: 68
; ScratchSize: 0
; MemoryBound: 0
; FloatMode: 240
; IeeeMode: 1
; LDSByteSize: 0 bytes/workgroup (compile time only)
; SGPRBlocks: 4
; VGPRBlocks: 8
; NumSGPRsForWavesPerEU: 37
; NumVGPRsForWavesPerEU: 68
; Occupancy: 16
; WaveLimiterHint : 1
; COMPUTE_PGM_RSRC2:SCRATCH_EN: 0
; COMPUTE_PGM_RSRC2:USER_SGPR: 2
; COMPUTE_PGM_RSRC2:TRAP_HANDLER: 0
; COMPUTE_PGM_RSRC2:TGID_X_EN: 1
; COMPUTE_PGM_RSRC2:TGID_Y_EN: 0
; COMPUTE_PGM_RSRC2:TGID_Z_EN: 0
; COMPUTE_PGM_RSRC2:TIDIG_COMP_CNT: 0
	.text
	.p2alignl 7, 3214868480
	.fill 96, 4, 3214868480
	.type	__hip_cuid_c7bb1ae92e2f7333,@object ; @__hip_cuid_c7bb1ae92e2f7333
	.section	.bss,"aw",@nobits
	.globl	__hip_cuid_c7bb1ae92e2f7333
__hip_cuid_c7bb1ae92e2f7333:
	.byte	0                               ; 0x0
	.size	__hip_cuid_c7bb1ae92e2f7333, 1

	.ident	"AMD clang version 19.0.0git (https://github.com/RadeonOpenCompute/llvm-project roc-6.4.0 25133 c7fe45cf4b819c5991fe208aaa96edf142730f1d)"
	.section	".note.GNU-stack","",@progbits
	.addrsig
	.addrsig_sym __hip_cuid_c7bb1ae92e2f7333
	.amdgpu_metadata
---
amdhsa.kernels:
  - .args:
      - .actual_access:  read_only
        .address_space:  global
        .offset:         0
        .size:           8
        .value_kind:     global_buffer
      - .offset:         8
        .size:           8
        .value_kind:     by_value
      - .actual_access:  read_only
        .address_space:  global
        .offset:         16
        .size:           8
        .value_kind:     global_buffer
      - .actual_access:  read_only
        .address_space:  global
        .offset:         24
        .size:           8
        .value_kind:     global_buffer
      - .offset:         32
        .size:           8
        .value_kind:     by_value
      - .actual_access:  read_only
        .address_space:  global
        .offset:         40
        .size:           8
        .value_kind:     global_buffer
      - .actual_access:  read_only
        .address_space:  global
        .offset:         48
        .size:           8
        .value_kind:     global_buffer
      - .offset:         56
        .size:           4
        .value_kind:     by_value
      - .actual_access:  read_only
        .address_space:  global
        .offset:         64
        .size:           8
        .value_kind:     global_buffer
      - .actual_access:  read_only
        .address_space:  global
        .offset:         72
        .size:           8
        .value_kind:     global_buffer
      - .address_space:  global
        .offset:         80
        .size:           8
        .value_kind:     global_buffer
    .group_segment_fixed_size: 0
    .kernarg_segment_align: 8
    .kernarg_segment_size: 88
    .language:       OpenCL C
    .language_version:
      - 2
      - 0
    .max_flat_workgroup_size: 60
    .name:           fft_rtc_back_len300_factors_10_10_3_wgs_60_tpt_30_halfLds_sp_ip_CI_sbrr_dirReg
    .private_segment_fixed_size: 0
    .sgpr_count:     37
    .sgpr_spill_count: 0
    .symbol:         fft_rtc_back_len300_factors_10_10_3_wgs_60_tpt_30_halfLds_sp_ip_CI_sbrr_dirReg.kd
    .uniform_work_group_size: 1
    .uses_dynamic_stack: false
    .vgpr_count:     68
    .vgpr_spill_count: 0
    .wavefront_size: 32
    .workgroup_processor_mode: 1
amdhsa.target:   amdgcn-amd-amdhsa--gfx1201
amdhsa.version:
  - 1
  - 2
...

	.end_amdgpu_metadata
